;; amdgpu-corpus repo=ROCm/rocFFT kind=compiled arch=gfx1201 opt=O3
	.text
	.amdgcn_target "amdgcn-amd-amdhsa--gfx1201"
	.amdhsa_code_object_version 6
	.protected	fft_rtc_back_len1386_factors_2_7_3_11_3_wgs_231_tpt_231_halfLds_sp_ip_CI_unitstride_sbrr_R2C_dirReg ; -- Begin function fft_rtc_back_len1386_factors_2_7_3_11_3_wgs_231_tpt_231_halfLds_sp_ip_CI_unitstride_sbrr_R2C_dirReg
	.globl	fft_rtc_back_len1386_factors_2_7_3_11_3_wgs_231_tpt_231_halfLds_sp_ip_CI_unitstride_sbrr_R2C_dirReg
	.p2align	8
	.type	fft_rtc_back_len1386_factors_2_7_3_11_3_wgs_231_tpt_231_halfLds_sp_ip_CI_unitstride_sbrr_R2C_dirReg,@function
fft_rtc_back_len1386_factors_2_7_3_11_3_wgs_231_tpt_231_halfLds_sp_ip_CI_unitstride_sbrr_R2C_dirReg: ; @fft_rtc_back_len1386_factors_2_7_3_11_3_wgs_231_tpt_231_halfLds_sp_ip_CI_unitstride_sbrr_R2C_dirReg
; %bb.0:
	s_clause 0x2
	s_load_b128 s[4:7], s[0:1], 0x0
	s_load_b64 s[8:9], s[0:1], 0x50
	s_load_b64 s[10:11], s[0:1], 0x18
	v_mul_u32_u24_e32 v1, 0x11c, v0
	v_mov_b32_e32 v3, 0
	s_delay_alu instid0(VALU_DEP_2) | instskip(NEXT) | instid1(VALU_DEP_1)
	v_lshrrev_b32_e32 v1, 16, v1
	v_add_nc_u32_e32 v5, ttmp9, v1
	v_mov_b32_e32 v1, 0
	v_mov_b32_e32 v2, 0
	;; [unrolled: 1-line block ×3, first 2 shown]
	s_wait_kmcnt 0x0
	v_cmp_lt_u64_e64 s2, s[6:7], 2
	s_delay_alu instid0(VALU_DEP_1)
	s_and_b32 vcc_lo, exec_lo, s2
	s_cbranch_vccnz .LBB0_8
; %bb.1:
	s_load_b64 s[2:3], s[0:1], 0x10
	v_mov_b32_e32 v1, 0
	v_mov_b32_e32 v2, 0
	s_add_nc_u64 s[12:13], s[10:11], 8
	s_mov_b64 s[14:15], 1
	s_wait_kmcnt 0x0
	s_add_nc_u64 s[16:17], s[2:3], 8
	s_mov_b32 s3, 0
.LBB0_2:                                ; =>This Inner Loop Header: Depth=1
	s_load_b64 s[18:19], s[16:17], 0x0
                                        ; implicit-def: $vgpr7_vgpr8
	s_mov_b32 s2, exec_lo
	s_wait_kmcnt 0x0
	v_or_b32_e32 v4, s19, v6
	s_delay_alu instid0(VALU_DEP_1)
	v_cmpx_ne_u64_e32 0, v[3:4]
	s_wait_alu 0xfffe
	s_xor_b32 s20, exec_lo, s2
	s_cbranch_execz .LBB0_4
; %bb.3:                                ;   in Loop: Header=BB0_2 Depth=1
	s_cvt_f32_u32 s2, s18
	s_cvt_f32_u32 s21, s19
	s_sub_nc_u64 s[24:25], 0, s[18:19]
	s_wait_alu 0xfffe
	s_delay_alu instid0(SALU_CYCLE_1) | instskip(SKIP_1) | instid1(SALU_CYCLE_2)
	s_fmamk_f32 s2, s21, 0x4f800000, s2
	s_wait_alu 0xfffe
	v_s_rcp_f32 s2, s2
	s_delay_alu instid0(TRANS32_DEP_1) | instskip(SKIP_1) | instid1(SALU_CYCLE_2)
	s_mul_f32 s2, s2, 0x5f7ffffc
	s_wait_alu 0xfffe
	s_mul_f32 s21, s2, 0x2f800000
	s_wait_alu 0xfffe
	s_delay_alu instid0(SALU_CYCLE_2) | instskip(SKIP_1) | instid1(SALU_CYCLE_2)
	s_trunc_f32 s21, s21
	s_wait_alu 0xfffe
	s_fmamk_f32 s2, s21, 0xcf800000, s2
	s_cvt_u32_f32 s23, s21
	s_wait_alu 0xfffe
	s_delay_alu instid0(SALU_CYCLE_1) | instskip(SKIP_1) | instid1(SALU_CYCLE_2)
	s_cvt_u32_f32 s22, s2
	s_wait_alu 0xfffe
	s_mul_u64 s[26:27], s[24:25], s[22:23]
	s_wait_alu 0xfffe
	s_mul_hi_u32 s29, s22, s27
	s_mul_i32 s28, s22, s27
	s_mul_hi_u32 s2, s22, s26
	s_mul_i32 s30, s23, s26
	s_wait_alu 0xfffe
	s_add_nc_u64 s[28:29], s[2:3], s[28:29]
	s_mul_hi_u32 s21, s23, s26
	s_mul_hi_u32 s31, s23, s27
	s_add_co_u32 s2, s28, s30
	s_wait_alu 0xfffe
	s_add_co_ci_u32 s2, s29, s21
	s_mul_i32 s26, s23, s27
	s_add_co_ci_u32 s27, s31, 0
	s_wait_alu 0xfffe
	s_add_nc_u64 s[26:27], s[2:3], s[26:27]
	s_wait_alu 0xfffe
	v_add_co_u32 v4, s2, s22, s26
	s_delay_alu instid0(VALU_DEP_1) | instskip(SKIP_1) | instid1(VALU_DEP_1)
	s_cmp_lg_u32 s2, 0
	s_add_co_ci_u32 s23, s23, s27
	v_readfirstlane_b32 s22, v4
	s_wait_alu 0xfffe
	s_delay_alu instid0(VALU_DEP_1)
	s_mul_u64 s[24:25], s[24:25], s[22:23]
	s_wait_alu 0xfffe
	s_mul_hi_u32 s27, s22, s25
	s_mul_i32 s26, s22, s25
	s_mul_hi_u32 s2, s22, s24
	s_mul_i32 s28, s23, s24
	s_wait_alu 0xfffe
	s_add_nc_u64 s[26:27], s[2:3], s[26:27]
	s_mul_hi_u32 s21, s23, s24
	s_mul_hi_u32 s22, s23, s25
	s_wait_alu 0xfffe
	s_add_co_u32 s2, s26, s28
	s_add_co_ci_u32 s2, s27, s21
	s_mul_i32 s24, s23, s25
	s_add_co_ci_u32 s25, s22, 0
	s_wait_alu 0xfffe
	s_add_nc_u64 s[24:25], s[2:3], s[24:25]
	s_wait_alu 0xfffe
	v_add_co_u32 v4, s2, v4, s24
	s_delay_alu instid0(VALU_DEP_1) | instskip(SKIP_1) | instid1(VALU_DEP_1)
	s_cmp_lg_u32 s2, 0
	s_add_co_ci_u32 s2, s23, s25
	v_mul_hi_u32 v13, v5, v4
	s_wait_alu 0xfffe
	v_mad_co_u64_u32 v[7:8], null, v5, s2, 0
	v_mad_co_u64_u32 v[9:10], null, v6, v4, 0
	;; [unrolled: 1-line block ×3, first 2 shown]
	s_delay_alu instid0(VALU_DEP_3) | instskip(SKIP_1) | instid1(VALU_DEP_4)
	v_add_co_u32 v4, vcc_lo, v13, v7
	s_wait_alu 0xfffd
	v_add_co_ci_u32_e32 v7, vcc_lo, 0, v8, vcc_lo
	s_delay_alu instid0(VALU_DEP_2) | instskip(SKIP_1) | instid1(VALU_DEP_2)
	v_add_co_u32 v4, vcc_lo, v4, v9
	s_wait_alu 0xfffd
	v_add_co_ci_u32_e32 v4, vcc_lo, v7, v10, vcc_lo
	s_wait_alu 0xfffd
	v_add_co_ci_u32_e32 v7, vcc_lo, 0, v12, vcc_lo
	s_delay_alu instid0(VALU_DEP_2) | instskip(SKIP_1) | instid1(VALU_DEP_2)
	v_add_co_u32 v4, vcc_lo, v4, v11
	s_wait_alu 0xfffd
	v_add_co_ci_u32_e32 v9, vcc_lo, 0, v7, vcc_lo
	s_delay_alu instid0(VALU_DEP_2) | instskip(SKIP_1) | instid1(VALU_DEP_3)
	v_mul_lo_u32 v10, s19, v4
	v_mad_co_u64_u32 v[7:8], null, s18, v4, 0
	v_mul_lo_u32 v11, s18, v9
	s_delay_alu instid0(VALU_DEP_2) | instskip(NEXT) | instid1(VALU_DEP_2)
	v_sub_co_u32 v7, vcc_lo, v5, v7
	v_add3_u32 v8, v8, v11, v10
	s_delay_alu instid0(VALU_DEP_1) | instskip(SKIP_1) | instid1(VALU_DEP_1)
	v_sub_nc_u32_e32 v10, v6, v8
	s_wait_alu 0xfffd
	v_subrev_co_ci_u32_e64 v10, s2, s19, v10, vcc_lo
	v_add_co_u32 v11, s2, v4, 2
	s_wait_alu 0xf1ff
	v_add_co_ci_u32_e64 v12, s2, 0, v9, s2
	v_sub_co_u32 v13, s2, v7, s18
	v_sub_co_ci_u32_e32 v8, vcc_lo, v6, v8, vcc_lo
	s_wait_alu 0xf1ff
	v_subrev_co_ci_u32_e64 v10, s2, 0, v10, s2
	s_delay_alu instid0(VALU_DEP_3) | instskip(NEXT) | instid1(VALU_DEP_3)
	v_cmp_le_u32_e32 vcc_lo, s18, v13
	v_cmp_eq_u32_e64 s2, s19, v8
	s_wait_alu 0xfffd
	v_cndmask_b32_e64 v13, 0, -1, vcc_lo
	v_cmp_le_u32_e32 vcc_lo, s19, v10
	s_wait_alu 0xfffd
	v_cndmask_b32_e64 v14, 0, -1, vcc_lo
	v_cmp_le_u32_e32 vcc_lo, s18, v7
	;; [unrolled: 3-line block ×3, first 2 shown]
	s_wait_alu 0xfffd
	v_cndmask_b32_e64 v15, 0, -1, vcc_lo
	v_cmp_eq_u32_e32 vcc_lo, s19, v10
	s_wait_alu 0xf1ff
	s_delay_alu instid0(VALU_DEP_2)
	v_cndmask_b32_e64 v7, v15, v7, s2
	s_wait_alu 0xfffd
	v_cndmask_b32_e32 v10, v14, v13, vcc_lo
	v_add_co_u32 v13, vcc_lo, v4, 1
	s_wait_alu 0xfffd
	v_add_co_ci_u32_e32 v14, vcc_lo, 0, v9, vcc_lo
	s_delay_alu instid0(VALU_DEP_3) | instskip(SKIP_2) | instid1(VALU_DEP_3)
	v_cmp_ne_u32_e32 vcc_lo, 0, v10
	s_wait_alu 0xfffd
	v_cndmask_b32_e32 v10, v13, v11, vcc_lo
	v_cndmask_b32_e32 v8, v14, v12, vcc_lo
	v_cmp_ne_u32_e32 vcc_lo, 0, v7
	s_wait_alu 0xfffd
	s_delay_alu instid0(VALU_DEP_2)
	v_dual_cndmask_b32 v7, v4, v10 :: v_dual_cndmask_b32 v8, v9, v8
.LBB0_4:                                ;   in Loop: Header=BB0_2 Depth=1
	s_wait_alu 0xfffe
	s_and_not1_saveexec_b32 s2, s20
	s_cbranch_execz .LBB0_6
; %bb.5:                                ;   in Loop: Header=BB0_2 Depth=1
	v_cvt_f32_u32_e32 v4, s18
	s_sub_co_i32 s20, 0, s18
	s_delay_alu instid0(VALU_DEP_1) | instskip(NEXT) | instid1(TRANS32_DEP_1)
	v_rcp_iflag_f32_e32 v4, v4
	v_mul_f32_e32 v4, 0x4f7ffffe, v4
	s_delay_alu instid0(VALU_DEP_1) | instskip(SKIP_1) | instid1(VALU_DEP_1)
	v_cvt_u32_f32_e32 v4, v4
	s_wait_alu 0xfffe
	v_mul_lo_u32 v7, s20, v4
	s_delay_alu instid0(VALU_DEP_1) | instskip(NEXT) | instid1(VALU_DEP_1)
	v_mul_hi_u32 v7, v4, v7
	v_add_nc_u32_e32 v4, v4, v7
	s_delay_alu instid0(VALU_DEP_1) | instskip(NEXT) | instid1(VALU_DEP_1)
	v_mul_hi_u32 v4, v5, v4
	v_mul_lo_u32 v7, v4, s18
	v_add_nc_u32_e32 v8, 1, v4
	s_delay_alu instid0(VALU_DEP_2) | instskip(NEXT) | instid1(VALU_DEP_1)
	v_sub_nc_u32_e32 v7, v5, v7
	v_subrev_nc_u32_e32 v9, s18, v7
	v_cmp_le_u32_e32 vcc_lo, s18, v7
	s_wait_alu 0xfffd
	s_delay_alu instid0(VALU_DEP_2) | instskip(NEXT) | instid1(VALU_DEP_1)
	v_dual_cndmask_b32 v7, v7, v9 :: v_dual_cndmask_b32 v4, v4, v8
	v_cmp_le_u32_e32 vcc_lo, s18, v7
	s_delay_alu instid0(VALU_DEP_2) | instskip(SKIP_1) | instid1(VALU_DEP_1)
	v_add_nc_u32_e32 v8, 1, v4
	s_wait_alu 0xfffd
	v_dual_cndmask_b32 v7, v4, v8 :: v_dual_mov_b32 v8, v3
.LBB0_6:                                ;   in Loop: Header=BB0_2 Depth=1
	s_wait_alu 0xfffe
	s_or_b32 exec_lo, exec_lo, s2
	s_load_b64 s[20:21], s[12:13], 0x0
	s_delay_alu instid0(VALU_DEP_1)
	v_mul_lo_u32 v4, v8, s18
	v_mul_lo_u32 v11, v7, s19
	v_mad_co_u64_u32 v[9:10], null, v7, s18, 0
	s_add_nc_u64 s[14:15], s[14:15], 1
	s_add_nc_u64 s[12:13], s[12:13], 8
	s_wait_alu 0xfffe
	v_cmp_ge_u64_e64 s2, s[14:15], s[6:7]
	s_add_nc_u64 s[16:17], s[16:17], 8
	s_delay_alu instid0(VALU_DEP_2) | instskip(NEXT) | instid1(VALU_DEP_3)
	v_add3_u32 v4, v10, v11, v4
	v_sub_co_u32 v5, vcc_lo, v5, v9
	s_wait_alu 0xfffd
	s_delay_alu instid0(VALU_DEP_2) | instskip(SKIP_3) | instid1(VALU_DEP_2)
	v_sub_co_ci_u32_e32 v4, vcc_lo, v6, v4, vcc_lo
	s_and_b32 vcc_lo, exec_lo, s2
	s_wait_kmcnt 0x0
	v_mul_lo_u32 v6, s21, v5
	v_mul_lo_u32 v4, s20, v4
	v_mad_co_u64_u32 v[1:2], null, s20, v5, v[1:2]
	s_delay_alu instid0(VALU_DEP_1)
	v_add3_u32 v2, v6, v2, v4
	s_wait_alu 0xfffe
	s_cbranch_vccnz .LBB0_9
; %bb.7:                                ;   in Loop: Header=BB0_2 Depth=1
	v_dual_mov_b32 v5, v7 :: v_dual_mov_b32 v6, v8
	s_branch .LBB0_2
.LBB0_8:
	v_dual_mov_b32 v8, v6 :: v_dual_mov_b32 v7, v5
.LBB0_9:
	s_lshl_b64 s[2:3], s[6:7], 3
	v_mul_hi_u32 v3, 0x11bb4a5, v0
	s_wait_alu 0xfffe
	s_add_nc_u64 s[2:3], s[10:11], s[2:3]
	s_load_b64 s[2:3], s[2:3], 0x0
	s_load_b64 s[0:1], s[0:1], 0x20
	s_delay_alu instid0(VALU_DEP_1) | instskip(NEXT) | instid1(VALU_DEP_1)
	v_mul_u32_u24_e32 v3, 0xe7, v3
	v_sub_nc_u32_e32 v40, v0, v3
	s_delay_alu instid0(VALU_DEP_1)
	v_add_nc_u32_e32 v42, 0xe7, v40
	v_add_nc_u32_e32 v46, 0x1ce, v40
	s_wait_kmcnt 0x0
	v_mul_lo_u32 v4, s2, v8
	v_mul_lo_u32 v5, s3, v7
	v_mad_co_u64_u32 v[1:2], null, s2, v7, v[1:2]
	v_cmp_gt_u64_e32 vcc_lo, s[0:1], v[7:8]
	v_cmp_le_u64_e64 s0, s[0:1], v[7:8]
	s_delay_alu instid0(VALU_DEP_3) | instskip(NEXT) | instid1(VALU_DEP_2)
	v_add3_u32 v2, v5, v2, v4
	s_and_saveexec_b32 s1, s0
	s_wait_alu 0xfffe
	s_xor_b32 s0, exec_lo, s1
; %bb.10:
	v_add_nc_u32_e32 v42, 0xe7, v40
	v_add_nc_u32_e32 v46, 0x1ce, v40
; %bb.11:
	s_wait_alu 0xfffe
	s_or_saveexec_b32 s1, s0
	v_lshlrev_b64_e32 v[44:45], 3, v[1:2]
	s_wait_alu 0xfffe
	s_xor_b32 exec_lo, exec_lo, s1
	s_cbranch_execz .LBB0_13
; %bb.12:
	v_lshl_add_u32 v12, v40, 3, 0
	v_mov_b32_e32 v41, 0
	v_add_co_u32 v2, s0, s8, v44
	s_wait_alu 0xf1ff
	v_add_co_ci_u32_e64 v3, s0, s9, v45, s0
	v_add_nc_u32_e32 v14, 0x1c80, v12
	v_lshlrev_b64_e32 v[0:1], 3, v[40:41]
	v_add_nc_u32_e32 v13, 0xe00, v12
	s_delay_alu instid0(VALU_DEP_2) | instskip(SKIP_1) | instid1(VALU_DEP_3)
	v_add_co_u32 v0, s0, v2, v0
	s_wait_alu 0xf1ff
	v_add_co_ci_u32_e64 v1, s0, v3, v1, s0
	s_clause 0x5
	global_load_b64 v[2:3], v[0:1], off
	global_load_b64 v[4:5], v[0:1], off offset:1848
	global_load_b64 v[6:7], v[0:1], off offset:3696
	;; [unrolled: 1-line block ×5, first 2 shown]
	s_wait_loadcnt 0x4
	ds_store_2addr_b64 v12, v[2:3], v[4:5] offset1:231
	s_wait_loadcnt 0x2
	ds_store_2addr_b64 v13, v[6:7], v[8:9] offset0:14 offset1:245
	s_wait_loadcnt 0x0
	ds_store_2addr_b64 v14, v[10:11], v[0:1] offset0:12 offset1:243
.LBB0_13:
	s_or_b32 exec_lo, exec_lo, s1
	v_lshlrev_b32_e32 v41, 3, v40
	global_wb scope:SCOPE_SE
	s_wait_dscnt 0x0
	s_barrier_signal -1
	s_barrier_wait -1
	global_inv scope:SCOPE_SE
	v_add_nc_u32_e32 v50, 0, v41
	v_lshl_add_u32 v43, v42, 4, 0
	v_lshl_add_u32 v51, v46, 4, 0
	v_cmp_gt_u32_e64 s0, 0xc6, v40
	s_delay_alu instid0(VALU_DEP_4)
	v_add_nc_u32_e32 v0, 0xe00, v50
	v_add_nc_u32_e32 v1, 0x1c80, v50
	ds_load_2addr_b64 v[12:15], v50 offset1:231
	ds_load_2addr_b64 v[4:7], v0 offset0:14 offset1:245
	ds_load_2addr_b64 v[16:19], v1 offset0:12 offset1:243
	global_wb scope:SCOPE_SE
	s_wait_dscnt 0x0
	s_barrier_signal -1
	s_barrier_wait -1
	global_inv scope:SCOPE_SE
	v_sub_f32_e32 v2, v12, v6
	v_dual_sub_f32 v10, v14, v16 :: v_dual_sub_f32 v3, v13, v7
	v_dual_sub_f32 v7, v5, v19 :: v_dual_add_nc_u32 v20, v50, v41
	v_dual_sub_f32 v11, v15, v17 :: v_dual_sub_f32 v6, v4, v18
	s_delay_alu instid0(VALU_DEP_4) | instskip(NEXT) | instid1(VALU_DEP_4)
	v_fma_f32 v0, v12, 2.0, -v2
	v_fma_f32 v1, v13, 2.0, -v3
	;; [unrolled: 1-line block ×3, first 2 shown]
	s_delay_alu instid0(VALU_DEP_4)
	v_fma_f32 v9, v15, 2.0, -v11
	v_fma_f32 v4, v4, 2.0, -v6
	;; [unrolled: 1-line block ×3, first 2 shown]
	ds_store_2addr_b64 v20, v[0:1], v[2:3] offset1:1
	ds_store_2addr_b64 v43, v[8:9], v[10:11] offset1:1
	;; [unrolled: 1-line block ×3, first 2 shown]
	global_wb scope:SCOPE_SE
	s_wait_dscnt 0x0
	s_barrier_signal -1
	s_barrier_wait -1
	global_inv scope:SCOPE_SE
                                        ; implicit-def: $vgpr13
	s_and_saveexec_b32 s1, s0
	s_cbranch_execz .LBB0_15
; %bb.14:
	v_add_nc_u32_e32 v4, 0xc00, v50
	v_add_nc_u32_e32 v5, 0x1800, v50
	ds_load_2addr_b64 v[0:3], v50 offset1:198
	ds_load_2addr_b64 v[8:11], v4 offset0:12 offset1:210
	ds_load_2addr_b64 v[4:7], v5 offset0:24 offset1:222
	ds_load_b64 v[12:13], v50 offset:9504
.LBB0_15:
	s_wait_alu 0xfffe
	s_or_b32 exec_lo, exec_lo, s1
	v_and_b32_e32 v14, 1, v40
	s_delay_alu instid0(VALU_DEP_1) | instskip(NEXT) | instid1(VALU_DEP_1)
	v_mul_u32_u24_e32 v15, 6, v14
	v_lshlrev_b32_e32 v23, 3, v15
	s_clause 0x2
	global_load_b128 v[15:18], v23, s[4:5]
	global_load_b128 v[19:22], v23, s[4:5] offset:16
	global_load_b128 v[23:26], v23, s[4:5] offset:32
	global_wb scope:SCOPE_SE
	s_wait_loadcnt_dscnt 0x0
	s_barrier_signal -1
	s_barrier_wait -1
	global_inv scope:SCOPE_SE
	v_dual_mul_f32 v27, v3, v16 :: v_dual_mul_f32 v28, v9, v18
	v_mul_f32_e32 v16, v2, v16
	v_dual_mul_f32 v18, v8, v18 :: v_dual_mul_f32 v29, v11, v20
	v_dual_mul_f32 v30, v5, v22 :: v_dual_mul_f32 v31, v7, v24
	s_delay_alu instid0(VALU_DEP_4) | instskip(NEXT) | instid1(VALU_DEP_4)
	v_fmac_f32_e32 v27, v2, v15
	v_fma_f32 v2, v3, v15, -v16
	s_delay_alu instid0(VALU_DEP_4) | instskip(SKIP_4) | instid1(VALU_DEP_4)
	v_fma_f32 v3, v9, v17, -v18
	v_mul_f32_e32 v24, v6, v24
	v_dual_mul_f32 v22, v4, v22 :: v_dual_fmac_f32 v29, v10, v19
	v_dual_mul_f32 v32, v13, v26 :: v_dual_fmac_f32 v31, v6, v23
	v_mul_f32_e32 v26, v12, v26
	v_fma_f32 v9, v7, v23, -v24
	v_mul_f32_e32 v20, v10, v20
	v_fma_f32 v5, v5, v21, -v22
	s_delay_alu instid0(VALU_DEP_2) | instskip(NEXT) | instid1(VALU_DEP_4)
	v_fma_f32 v10, v11, v19, -v20
	v_add_f32_e32 v19, v3, v9
	v_fmac_f32_e32 v30, v4, v21
	v_fma_f32 v4, v13, v25, -v26
	v_fmac_f32_e32 v28, v8, v17
	v_sub_f32_e32 v9, v3, v9
	v_add_f32_e32 v3, v10, v5
	v_sub_f32_e32 v5, v5, v10
	v_sub_f32_e32 v7, v2, v4
	v_dual_add_f32 v13, v2, v4 :: v_dual_fmac_f32 v32, v12, v25
	v_add_f32_e32 v8, v28, v31
	v_sub_f32_e32 v20, v28, v31
	v_dual_add_f32 v2, v29, v30 :: v_dual_sub_f32 v23, v3, v19
	s_delay_alu instid0(VALU_DEP_4) | instskip(SKIP_2) | instid1(VALU_DEP_3)
	v_add_f32_e32 v11, v19, v13
	v_dual_sub_f32 v15, v13, v3 :: v_dual_add_f32 v6, v27, v32
	v_sub_f32_e32 v17, v5, v9
	v_dual_sub_f32 v4, v30, v29 :: v_dual_add_f32 v11, v3, v11
	s_delay_alu instid0(VALU_DEP_3) | instskip(NEXT) | instid1(VALU_DEP_4)
	v_dual_sub_f32 v18, v27, v32 :: v_dual_mul_f32 v27, 0x3f4a47b2, v15
	v_add_f32_e32 v10, v8, v6
	s_delay_alu instid0(VALU_DEP_3) | instskip(SKIP_4) | instid1(VALU_DEP_3)
	v_dual_sub_f32 v12, v6, v2 :: v_dual_add_f32 v21, v4, v20
	v_add_f32_e32 v24, v5, v9
	v_dual_sub_f32 v5, v7, v5 :: v_dual_sub_f32 v22, v2, v8
	v_dual_sub_f32 v16, v4, v20 :: v_dual_add_f32 v3, v1, v11
	v_dual_sub_f32 v4, v18, v4 :: v_dual_fmamk_f32 v1, v23, 0x3d64c772, v27
	v_dual_mul_f32 v25, 0xbeae86e6, v5 :: v_dual_add_f32 v10, v2, v10
	s_delay_alu instid0(VALU_DEP_3) | instskip(SKIP_1) | instid1(VALU_DEP_3)
	v_dual_add_f32 v26, v21, v18 :: v_dual_fmamk_f32 v15, v11, 0xbf955555, v3
	v_dual_mul_f32 v21, 0x3f4a47b2, v12 :: v_dual_add_f32 v24, v24, v7
	v_dual_fmamk_f32 v5, v17, 0x3f08b237, v25 :: v_dual_add_f32 v2, v0, v10
	s_delay_alu instid0(VALU_DEP_3) | instskip(NEXT) | instid1(VALU_DEP_3)
	v_add_f32_e32 v12, v1, v15
	v_fmamk_f32 v0, v22, 0x3d64c772, v21
	s_delay_alu instid0(VALU_DEP_3) | instskip(NEXT) | instid1(VALU_DEP_4)
	v_fmac_f32_e32 v5, 0xbee1c552, v24
	v_fmamk_f32 v10, v10, 0xbf955555, v2
	s_delay_alu instid0(VALU_DEP_1) | instskip(NEXT) | instid1(VALU_DEP_1)
	v_dual_mul_f32 v28, 0xbeae86e6, v4 :: v_dual_add_f32 v11, v0, v10
	v_fmamk_f32 v4, v16, 0x3f08b237, v28
	s_delay_alu instid0(VALU_DEP_2) | instskip(NEXT) | instid1(VALU_DEP_2)
	v_sub_f32_e32 v0, v11, v5
	v_fmac_f32_e32 v4, 0xbee1c552, v26
	s_delay_alu instid0(VALU_DEP_1)
	v_add_f32_e32 v1, v4, v12
	s_and_saveexec_b32 s1, s0
	s_cbranch_execz .LBB0_17
; %bb.16:
	v_dual_sub_f32 v18, v20, v18 :: v_dual_sub_f32 v13, v19, v13
	v_dual_mul_f32 v19, 0x3d64c772, v22 :: v_dual_mul_f32 v20, 0x3d64c772, v23
	v_mul_f32_e32 v22, 0xbee1c552, v26
	s_delay_alu instid0(VALU_DEP_3)
	v_fma_f32 v23, 0x3f5ff5aa, v18, -v28
	v_sub_f32_e32 v6, v8, v6
	v_dual_sub_f32 v8, v9, v7 :: v_dual_mul_f32 v17, 0x3f08b237, v17
	v_fma_f32 v26, 0xbf3bfb3b, v13, -v27
	v_mul_f32_e32 v9, 0xbee1c552, v24
	v_add_f32_e32 v23, v22, v23
	s_delay_alu instid0(VALU_DEP_4)
	v_fma_f32 v25, 0x3f5ff5aa, v8, -v25
	v_mul_f32_e32 v16, 0x3f08b237, v16
	v_fma_f32 v21, 0xbf3bfb3b, v6, -v21
	v_add_f32_e32 v24, v26, v15
	v_fma_f32 v13, 0x3f3bfb3b, v13, -v20
	v_add_f32_e32 v25, v9, v25
	v_fma_f32 v16, 0xbf5ff5aa, v18, -v16
	v_add_f32_e32 v21, v21, v10
	v_fma_f32 v8, 0xbf5ff5aa, v8, -v17
	v_lshrrev_b32_e32 v17, 1, v40
	v_fma_f32 v6, 0x3f3bfb3b, v6, -v19
	v_add_f32_e32 v7, v23, v24
	s_delay_alu instid0(VALU_DEP_4) | instskip(NEXT) | instid1(VALU_DEP_3)
	v_add_f32_e32 v8, v9, v8
	v_dual_add_f32 v10, v6, v10 :: v_dual_add_f32 v13, v13, v15
	v_dual_add_f32 v15, v22, v16 :: v_dual_sub_f32 v6, v21, v25
	v_mul_u32_u24_e32 v16, 14, v17
	v_dual_sub_f32 v17, v12, v4 :: v_dual_add_f32 v12, v25, v21
	s_delay_alu instid0(VALU_DEP_2) | instskip(SKIP_3) | instid1(VALU_DEP_4)
	v_or_b32_e32 v18, v16, v14
	v_add_f32_e32 v16, v5, v11
	v_dual_sub_f32 v14, v10, v8 :: v_dual_sub_f32 v9, v13, v15
	v_dual_add_f32 v15, v15, v13 :: v_dual_add_f32 v8, v8, v10
	v_lshl_add_u32 v4, v18, 3, 0
	v_sub_f32_e32 v13, v24, v23
	ds_store_2addr_b64 v4, v[2:3], v[16:17] offset1:2
	ds_store_2addr_b64 v4, v[12:13], v[14:15] offset0:4 offset1:6
	ds_store_2addr_b64 v4, v[8:9], v[6:7] offset0:8 offset1:10
	ds_store_b64 v4, v[0:1] offset:96
.LBB0_17:
	s_wait_alu 0xfffe
	s_or_b32 exec_lo, exec_lo, s1
	v_lshrrev_b16 v2, 1, v40
	v_lshrrev_b16 v3, 1, v42
	global_wb scope:SCOPE_SE
	s_wait_dscnt 0x0
	s_barrier_signal -1
	s_barrier_wait -1
	v_and_b32_e32 v20, 0x7f, v2
	v_and_b32_e32 v2, 0xffff, v3
	global_inv scope:SCOPE_SE
	v_cmp_gt_u32_e64 s0, 0x7e, v40
                                        ; implicit-def: $vgpr49
	v_mul_lo_u16 v3, 0x93, v20
	v_mul_u32_u24_e32 v2, 0x4925, v2
	s_delay_alu instid0(VALU_DEP_2) | instskip(NEXT) | instid1(VALU_DEP_2)
	v_lshrrev_b16 v12, 10, v3
	v_lshrrev_b32_e32 v25, 17, v2
	s_delay_alu instid0(VALU_DEP_2) | instskip(NEXT) | instid1(VALU_DEP_2)
	v_mul_lo_u16 v2, v12, 14
	v_mul_lo_u16 v3, v25, 14
	v_mul_u32_u24_e32 v25, 0x150, v25
	s_delay_alu instid0(VALU_DEP_3) | instskip(NEXT) | instid1(VALU_DEP_3)
	v_sub_nc_u16 v2, v40, v2
	v_sub_nc_u16 v3, v42, v3
	s_delay_alu instid0(VALU_DEP_2) | instskip(NEXT) | instid1(VALU_DEP_2)
	v_and_b32_e32 v26, 0xff, v2
	v_and_b32_e32 v27, 0xffff, v3
	s_delay_alu instid0(VALU_DEP_2) | instskip(NEXT) | instid1(VALU_DEP_2)
	v_lshlrev_b32_e32 v2, 4, v26
	v_lshlrev_b32_e32 v6, 4, v27
	s_clause 0x1
	global_load_b128 v[2:5], v2, s[4:5] offset:96
	global_load_b128 v[6:9], v6, s[4:5] offset:96
	v_lshlrev_b32_e32 v21, 3, v46
	v_lshlrev_b32_e32 v22, 3, v42
	v_add_nc_u32_e32 v11, 0x1500, v50
	s_delay_alu instid0(VALU_DEP_3) | instskip(NEXT) | instid1(VALU_DEP_3)
	v_sub_nc_u32_e32 v10, v51, v21
	v_sub_nc_u32_e32 v13, v43, v22
	ds_load_b64 v[18:19], v10
	ds_load_2addr_b64 v[14:17], v11 offset0:21 offset1:252
	ds_load_b64 v[10:11], v13
	ds_load_b64 v[23:24], v50 offset:9240
	v_and_b32_e32 v28, 0xffff, v12
	ds_load_2addr_b32 v[12:13], v50 offset1:1
	v_lshlrev_b32_e32 v26, 3, v26
	global_wb scope:SCOPE_SE
	s_wait_loadcnt_dscnt 0x0
	s_barrier_signal -1
	v_mul_u32_u24_e32 v28, 0x150, v28
	s_barrier_wait -1
	global_inv scope:SCOPE_SE
	v_add3_u32 v26, 0, v28, v26
	v_dual_mul_f32 v28, v5, v17 :: v_dual_mul_f32 v29, v7, v15
	v_mul_f32_e32 v30, v9, v24
	v_mul_f32_e32 v5, v5, v16
	;; [unrolled: 1-line block ×4, first 2 shown]
	s_delay_alu instid0(VALU_DEP_4) | instskip(SKIP_1) | instid1(VALU_DEP_2)
	v_dual_fmac_f32 v29, v6, v14 :: v_dual_fmac_f32 v30, v8, v23
	v_dual_fmac_f32 v28, v4, v16 :: v_dual_lshlrev_b32 v27, 3, v27
	v_add_f32_e32 v14, v10, v29
	s_delay_alu instid0(VALU_DEP_2) | instskip(SKIP_2) | instid1(VALU_DEP_4)
	v_add3_u32 v25, 0, v25, v27
	v_mul_f32_e32 v27, v3, v19
	v_mul_f32_e32 v3, v3, v18
	v_add_f32_e32 v14, v14, v30
	s_delay_alu instid0(VALU_DEP_3) | instskip(NEXT) | instid1(VALU_DEP_3)
	v_fmac_f32_e32 v27, v2, v18
	v_fma_f32 v2, v2, v19, -v3
	v_fma_f32 v3, v4, v17, -v5
	;; [unrolled: 1-line block ×4, first 2 shown]
	v_add_f32_e32 v5, v27, v12
	s_delay_alu instid0(VALU_DEP_4)
	v_dual_add_f32 v7, v27, v28 :: v_dual_sub_f32 v8, v2, v3
	v_dual_add_f32 v9, v13, v2 :: v_dual_add_f32 v2, v2, v3
	v_dual_sub_f32 v16, v27, v28 :: v_dual_add_f32 v15, v29, v30
	v_add_f32_e32 v19, v4, v6
	v_dual_sub_f32 v17, v4, v6 :: v_dual_add_f32 v18, v11, v4
	v_add_f32_e32 v4, v5, v28
	v_fma_f32 v12, -0.5, v7, v12
	v_sub_f32_e32 v23, v29, v30
	v_fmac_f32_e32 v13, -0.5, v2
	v_fma_f32 v10, -0.5, v15, v10
	v_fmac_f32_e32 v11, -0.5, v19
	v_add_f32_e32 v5, v9, v3
	v_dual_add_f32 v15, v18, v6 :: v_dual_fmamk_f32 v6, v8, 0xbf5db3d7, v12
	v_fmac_f32_e32 v12, 0x3f5db3d7, v8
	v_fmamk_f32 v8, v17, 0xbf5db3d7, v10
	v_fmamk_f32 v7, v16, 0x3f5db3d7, v13
	v_fmac_f32_e32 v13, 0xbf5db3d7, v16
	v_dual_fmac_f32 v10, 0x3f5db3d7, v17 :: v_dual_fmamk_f32 v9, v23, 0x3f5db3d7, v11
	v_fmac_f32_e32 v11, 0xbf5db3d7, v23
	ds_store_2addr_b64 v26, v[4:5], v[6:7] offset1:14
	ds_store_b64 v26, v[12:13] offset:224
	ds_store_2addr_b64 v25, v[14:15], v[8:9] offset1:14
	ds_store_b64 v25, v[10:11] offset:224
	global_wb scope:SCOPE_SE
	s_wait_dscnt 0x0
	s_barrier_signal -1
	s_barrier_wait -1
	global_inv scope:SCOPE_SE
                                        ; implicit-def: $vgpr19
	s_and_saveexec_b32 s1, s0
	s_cbranch_execz .LBB0_19
; %bb.18:
	v_add_nc_u32_e32 v0, 0x400, v50
	v_add_nc_u32_e32 v1, 0xc00, v50
	;; [unrolled: 1-line block ×4, first 2 shown]
	ds_load_2addr_b64 v[4:7], v50 offset1:126
	ds_load_2addr_b64 v[12:15], v0 offset0:124 offset1:250
	ds_load_2addr_b64 v[8:11], v1 offset0:120 offset1:246
	;; [unrolled: 1-line block ×4, first 2 shown]
	ds_load_b64 v[48:49], v50 offset:10080
.LBB0_19:
	s_wait_alu 0xfffe
	s_or_b32 exec_lo, exec_lo, s1
	v_lshlrev_b32_e32 v47, 1, v42
	v_sub_nc_u32_e32 v53, 0, v21
	v_sub_nc_u32_e32 v52, 0, v22
	global_wb scope:SCOPE_SE
	s_wait_dscnt 0x0
	s_barrier_signal -1
	s_barrier_wait -1
	global_inv scope:SCOPE_SE
	s_and_saveexec_b32 s1, s0
	s_cbranch_execz .LBB0_21
; %bb.20:
	v_mul_lo_u16 v20, v20, 49
	s_delay_alu instid0(VALU_DEP_1) | instskip(NEXT) | instid1(VALU_DEP_1)
	v_lshrrev_b16 v54, 10, v20
	v_mul_lo_u16 v20, v54, 42
	s_delay_alu instid0(VALU_DEP_1) | instskip(NEXT) | instid1(VALU_DEP_1)
	v_sub_nc_u16 v20, v40, v20
	v_and_b32_e32 v55, 0xff, v20
	s_delay_alu instid0(VALU_DEP_1) | instskip(NEXT) | instid1(VALU_DEP_1)
	v_mul_u32_u24_e32 v20, 10, v55
	v_lshlrev_b32_e32 v20, 3, v20
	s_clause 0x4
	global_load_b128 v[32:35], v20, s[4:5] offset:384
	global_load_b128 v[36:39], v20, s[4:5] offset:320
	;; [unrolled: 1-line block ×5, first 2 shown]
	s_wait_loadcnt 0x4
	v_dual_mul_f32 v57, v48, v35 :: v_dual_and_b32 v54, 0xffff, v54
	s_wait_loadcnt 0x3
	v_mul_f32_e32 v58, v6, v37
	v_mul_f32_e32 v37, v7, v37
	s_delay_alu instid0(VALU_DEP_3) | instskip(SKIP_4) | instid1(VALU_DEP_3)
	v_mul_u32_u24_e32 v54, 0xe70, v54
	s_wait_loadcnt 0x1
	v_dual_mul_f32 v62, v14, v29 :: v_dual_lshlrev_b32 v55, 3, v55
	v_dual_mul_f32 v59, v18, v33 :: v_dual_mul_f32 v64, v8, v31
	v_fma_f32 v7, v7, v36, -v58
	v_add3_u32 v54, 0, v54, v55
	v_fmac_f32_e32 v37, v6, v36
	v_mul_f32_e32 v35, v49, v35
	v_mul_f32_e32 v60, v12, v39
	s_wait_loadcnt 0x0
	v_dual_mul_f32 v39, v13, v39 :: v_dual_mul_f32 v66, v10, v21
	v_add_nc_u32_e32 v55, 0x400, v54
	v_add_nc_u32_e32 v56, 0x800, v54
	v_fma_f32 v49, v49, v34, -v57
	v_mul_f32_e32 v61, v16, v27
	v_fma_f32 v6, v13, v38, -v60
	v_fmac_f32_e32 v35, v48, v34
	v_mul_f32_e32 v21, v11, v21
	v_fmac_f32_e32 v39, v12, v38
	v_mul_f32_e32 v65, v0, v23
	v_dual_mul_f32 v23, v1, v23 :: v_dual_add_f32 v34, v4, v37
	v_mul_f32_e32 v31, v9, v31
	v_fma_f32 v13, v15, v28, -v62
	v_fma_f32 v9, v9, v30, -v64
	;; [unrolled: 1-line block ×3, first 2 shown]
	v_dual_fmac_f32 v23, v0, v22 :: v_dual_add_f32 v0, v7, v49
	v_fma_f32 v12, v17, v26, -v61
	v_mul_f32_e32 v63, v2, v25
	v_dual_mul_f32 v25, v3, v25 :: v_dual_add_f32 v22, v37, v35
	v_fmac_f32_e32 v21, v10, v20
	v_mul_f32_e32 v78, 0x3ed4b147, v0
	v_mul_f32_e32 v64, 0xbf27a4f4, v0
	s_delay_alu instid0(VALU_DEP_4) | instskip(SKIP_4) | instid1(VALU_DEP_4)
	v_fmac_f32_e32 v25, v2, v24
	v_fma_f32 v2, v11, v20, -v66
	v_dual_sub_f32 v20, v21, v23 :: v_dual_mul_f32 v33, v19, v33
	v_fma_f32 v19, v19, v32, -v59
	v_mul_f32_e32 v29, v15, v29
	v_dual_mul_f32 v27, v17, v27 :: v_dual_sub_f32 v38, v2, v1
	s_delay_alu instid0(VALU_DEP_3) | instskip(NEXT) | instid1(VALU_DEP_3)
	v_add_f32_e32 v10, v6, v19
	v_fmac_f32_e32 v29, v14, v28
	v_add_f32_e32 v14, v13, v12
	v_fma_f32 v3, v3, v24, -v63
	v_dual_sub_f32 v24, v7, v49 :: v_dual_fmac_f32 v31, v8, v30
	v_sub_f32_e32 v28, v6, v19
	v_dual_sub_f32 v8, v37, v35 :: v_dual_fmac_f32 v33, v18, v32
	s_delay_alu instid0(VALU_DEP_4)
	v_sub_f32_e32 v36, v9, v3
	v_dual_add_f32 v18, v2, v1 :: v_dual_fmac_f32 v27, v16, v26
	v_sub_f32_e32 v32, v13, v12
	v_add_f32_e32 v16, v9, v3
	v_dual_add_f32 v7, v5, v7 :: v_dual_mul_f32 v70, 0x3f7d64f0, v28
	v_dual_mul_f32 v57, 0xbf75a155, v0 :: v_dual_mul_f32 v80, 0xbf75a155, v14
	v_mul_f32_e32 v59, 0xbf27a4f4, v14
	s_delay_alu instid0(VALU_DEP_4) | instskip(NEXT) | instid1(VALU_DEP_4)
	v_mul_f32_e32 v60, 0x3ed4b147, v16
	v_dual_mul_f32 v63, 0x3f0a6770, v28 :: v_dual_add_f32 v6, v7, v6
	v_mul_f32_e32 v66, 0x3f575c64, v14
	v_add_f32_e32 v48, v21, v23
	v_sub_f32_e32 v15, v29, v27
	v_add_f32_e32 v30, v29, v27
	v_dual_add_f32 v26, v39, v33 :: v_dual_mul_f32 v61, 0xbe11bafb, v18
	v_dual_sub_f32 v11, v39, v33 :: v_dual_mul_f32 v62, 0xbe903f40, v24
	v_dual_mul_f32 v58, 0x3f575c64, v10 :: v_dual_sub_f32 v17, v31, v25
	v_dual_mul_f32 v68, 0x3ed4b147, v18 :: v_dual_add_f32 v37, v31, v25
	v_dual_mul_f32 v72, 0xbf75a155, v10 :: v_dual_mul_f32 v67, 0xbf75a155, v16
	v_dual_mul_f32 v69, 0xbf4178ce, v24 :: v_dual_add_f32 v6, v6, v13
	v_mul_f32_e32 v71, 0xbe11bafb, v0
	v_mul_f32_e32 v73, 0x3ed4b147, v14
	v_dual_mul_f32 v74, 0x3f575c64, v16 :: v_dual_add_f32 v7, v34, v39
	v_dual_mul_f32 v76, 0xbf7d64f0, v24 :: v_dual_mul_f32 v91, 0xbf7d64f0, v38
	v_dual_mul_f32 v82, 0x3f575c64, v18 :: v_dual_fmamk_f32 v101, v26, 0x3f575c64, v63
	v_dual_mul_f32 v83, 0xbf68dda4, v24 :: v_dual_fmamk_f32 v98, v17, 0xbf68dda4, v60
	s_delay_alu instid0(VALU_DEP_4) | instskip(NEXT) | instid1(VALU_DEP_3)
	v_dual_mul_f32 v0, 0x3f575c64, v0 :: v_dual_add_f32 v7, v7, v29
	v_dual_mul_f32 v24, 0xbf0a6770, v24 :: v_dual_fmamk_f32 v121, v20, 0xbf0a6770, v82
	v_dual_mul_f32 v86, 0x3e903f40, v32 :: v_dual_fmamk_f32 v95, v8, 0x3e903f40, v57
	v_mul_f32_e32 v79, 0xbf27a4f4, v10
	v_fmamk_f32 v102, v8, 0x3f4178ce, v64
	v_fmamk_f32 v108, v26, 0xbe11bafb, v70
	v_dual_mul_f32 v90, 0x3f7d64f0, v36 :: v_dual_fmamk_f32 v99, v20, 0x3f7d64f0, v61
	v_mul_f32_e32 v81, 0xbe11bafb, v16
	v_mul_f32_e32 v16, 0xbf27a4f4, v16
	v_fmamk_f32 v97, v15, 0x3f4178ce, v59
	v_fmac_f32_e32 v64, 0xbf4178ce, v8
	v_dual_mul_f32 v65, 0xbe11bafb, v10 :: v_dual_fmamk_f32 v114, v22, 0xbe11bafb, v76
	v_mul_f32_e32 v77, 0x3e903f40, v28
	v_dual_mul_f32 v84, 0xbf4178ce, v28 :: v_dual_mul_f32 v93, 0xbf4178ce, v38
	v_mul_f32_e32 v14, 0xbe11bafb, v14
	v_dual_mul_f32 v28, 0xbf68dda4, v28 :: v_dual_fmamk_f32 v111, v15, 0xbf68dda4, v73
	v_mul_f32_e32 v34, 0xbf4178ce, v32
	v_dual_mul_f32 v39, 0xbf0a6770, v32 :: v_dual_fmamk_f32 v96, v11, 0xbf0a6770, v58
	v_dual_mul_f32 v85, 0x3f68dda4, v32 :: v_dual_mul_f32 v92, 0x3f68dda4, v38
	v_mul_f32_e32 v10, 0x3ed4b147, v10
	v_dual_mul_f32 v32, 0xbf7d64f0, v32 :: v_dual_fmamk_f32 v103, v11, 0xbf7d64f0, v65
	v_dual_mul_f32 v87, 0x3f68dda4, v36 :: v_dual_fmac_f32 v60, 0x3f68dda4, v17
	v_dual_mul_f32 v88, 0xbe903f40, v36 :: v_dual_fmamk_f32 v119, v15, 0xbe903f40, v80
	v_mul_f32_e32 v89, 0xbf0a6770, v36
	v_dual_mul_f32 v36, 0xbf4178ce, v36 :: v_dual_fmac_f32 v59, 0xbf4178ce, v15
	v_dual_mul_f32 v94, 0x3f0a6770, v38 :: v_dual_fmamk_f32 v117, v8, 0x3f0a6770, v0
	v_dual_mul_f32 v38, 0xbe903f40, v38 :: v_dual_fmac_f32 v57, 0xbe903f40, v8
	v_fmamk_f32 v107, v22, 0xbf27a4f4, v69
	v_dual_fmamk_f32 v115, v8, 0x3f68dda4, v78 :: v_dual_add_f32 v64, v5, v64
	v_fmamk_f32 v109, v8, 0x3f7d64f0, v71
	v_fmamk_f32 v100, v22, 0xbf75a155, v62
	;; [unrolled: 1-line block ×3, first 2 shown]
	v_fmac_f32_e32 v71, 0xbf7d64f0, v8
	v_fmac_f32_e32 v0, 0xbf0a6770, v8
	v_fma_f32 v62, 0xbf75a155, v22, -v62
	v_fma_f32 v69, 0xbf27a4f4, v22, -v69
	v_fmamk_f32 v116, v22, 0x3ed4b147, v83
	v_fma_f32 v76, 0xbe11bafb, v22, -v76
	v_fma_f32 v83, 0x3ed4b147, v22, -v83
	v_fmac_f32_e32 v78, 0xbf68dda4, v8
	v_fmamk_f32 v118, v11, 0x3f4178ce, v79
	v_fmac_f32_e32 v79, 0xbf4178ce, v11
	v_mul_f32_e32 v75, 0xbf27a4f4, v18
	v_mul_f32_e32 v18, 0xbf75a155, v18
	v_fmac_f32_e32 v66, 0xbf0a6770, v15
	v_dual_fmamk_f32 v8, v22, 0x3f575c64, v24 :: v_dual_fmamk_f32 v127, v37, 0x3f575c64, v89
	v_dual_fmamk_f32 v105, v17, 0x3e903f40, v67 :: v_dual_fmac_f32 v80, 0x3e903f40, v15
	v_dual_fmamk_f32 v106, v20, 0xbf68dda4, v68 :: v_dual_add_f32 v57, v5, v57
	v_dual_fmamk_f32 v110, v11, 0xbe903f40, v72 :: v_dual_fmac_f32 v67, 0xbe903f40, v17
	v_fmamk_f32 v112, v17, 0x3f0a6770, v74
	v_fmamk_f32 v113, v20, 0x3f4178ce, v75
	v_fma_f32 v22, 0x3f575c64, v22, -v24
	v_fmamk_f32 v13, v26, 0xbf27a4f4, v84
	v_fmac_f32_e32 v58, 0x3f0a6770, v11
	v_dual_fmac_f32 v65, 0x3f7d64f0, v11 :: v_dual_add_f32 v62, v4, v62
	v_fmac_f32_e32 v72, 0x3e903f40, v11
	v_dual_fmamk_f32 v24, v26, 0xbf75a155, v77 :: v_dual_fmamk_f32 v133, v48, 0xbf75a155, v38
	v_dual_fmac_f32 v73, 0x3f68dda4, v15 :: v_dual_fmac_f32 v68, 0x3f68dda4, v20
	v_fmac_f32_e32 v74, 0xbf0a6770, v17
	v_fmac_f32_e32 v61, 0xbf7d64f0, v20
	;; [unrolled: 1-line block ×3, first 2 shown]
	v_fma_f32 v63, 0x3f575c64, v26, -v63
	v_fma_f32 v70, 0xbe11bafb, v26, -v70
	;; [unrolled: 1-line block ×4, first 2 shown]
	v_fmamk_f32 v122, v30, 0x3f575c64, v39
	v_fma_f32 v39, 0x3f575c64, v30, -v39
	v_fmamk_f32 v123, v30, 0x3ed4b147, v85
	v_dual_fmamk_f32 v29, v11, 0x3f68dda4, v10 :: v_dual_add_f32 v8, v4, v8
	v_fmac_f32_e32 v10, 0xbf68dda4, v11
	v_dual_fmamk_f32 v11, v15, 0x3f7d64f0, v14 :: v_dual_add_f32 v76, v4, v76
	v_fmac_f32_e32 v14, 0xbf7d64f0, v15
	v_fmamk_f32 v15, v17, 0x3f4178ce, v16
	v_fmac_f32_e32 v16, 0xbf4178ce, v17
	v_fmac_f32_e32 v82, 0x3f0a6770, v20
	v_fma_f32 v85, 0x3ed4b147, v30, -v85
	v_fmamk_f32 v125, v30, 0xbe11bafb, v32
	v_fma_f32 v89, 0x3f575c64, v37, -v89
	v_fmamk_f32 v128, v37, 0xbe11bafb, v90
	;; [unrolled: 2-line block ×6, first 2 shown]
	v_fma_f32 v94, 0x3f575c64, v48, -v94
	v_fma_f32 v38, 0xbf75a155, v48, -v38
	v_dual_add_f32 v69, v4, v69 :: v_dual_fmamk_f32 v120, v17, 0xbf7d64f0, v81
	v_fmamk_f32 v126, v37, 0xbf75a155, v88
	v_fma_f32 v88, 0xbf75a155, v37, -v88
	v_add_f32_e32 v83, v4, v83
	v_dual_fmac_f32 v81, 0x3f7d64f0, v17 :: v_dual_add_f32 v78, v5, v78
	v_dual_fmamk_f32 v17, v20, 0x3e903f40, v18 :: v_dual_add_f32 v0, v5, v0
	v_fmac_f32_e32 v18, 0xbe903f40, v20
	v_fmamk_f32 v20, v26, 0x3ed4b147, v28
	v_fma_f32 v26, 0x3ed4b147, v26, -v28
	v_fmamk_f32 v28, v30, 0xbf27a4f4, v34
	v_fma_f32 v34, 0xbf27a4f4, v30, -v34
	;; [unrolled: 2-line block ×3, first 2 shown]
	v_fma_f32 v30, 0xbe11bafb, v30, -v32
	v_fmamk_f32 v32, v37, 0x3ed4b147, v87
	v_fma_f32 v87, 0x3ed4b147, v37, -v87
	v_fmamk_f32 v37, v48, 0xbe11bafb, v91
	v_fma_f32 v91, 0xbe11bafb, v48, -v91
	v_dual_add_f32 v48, v5, v95 :: v_dual_add_f32 v95, v4, v100
	v_add_f32_e32 v100, v5, v102
	v_dual_add_f32 v102, v4, v107 :: v_dual_add_f32 v107, v5, v109
	v_dual_add_f32 v109, v4, v114 :: v_dual_add_f32 v114, v5, v115
	;; [unrolled: 1-line block ×3, first 2 shown]
	v_add_f32_e32 v71, v5, v71
	v_dual_add_f32 v5, v6, v9 :: v_dual_add_f32 v4, v4, v22
	v_dual_add_f32 v6, v7, v31 :: v_dual_add_f32 v7, v96, v48
	v_add_f32_e32 v48, v110, v107
	v_dual_add_f32 v22, v103, v100 :: v_dual_add_f32 v9, v101, v95
	v_add_f32_e32 v31, v108, v102
	v_add_f32_e32 v13, v13, v115
	;; [unrolled: 1-line block ×4, first 2 shown]
	v_dual_add_f32 v8, v20, v8 :: v_dual_add_f32 v5, v6, v21
	v_add_f32_e32 v6, v58, v57
	v_dual_add_f32 v20, v63, v62 :: v_dual_add_f32 v9, v28, v9
	v_dual_add_f32 v57, v70, v69 :: v_dual_add_f32 v58, v72, v71
	;; [unrolled: 1-line block ×4, first 2 shown]
	v_add_f32_e32 v95, v118, v114
	v_add_f32_e32 v21, v65, v64
	v_dual_add_f32 v62, v77, v76 :: v_dual_add_f32 v13, v124, v13
	v_add_f32_e32 v64, v84, v83
	v_dual_add_f32 v4, v26, v4 :: v_dual_add_f32 v9, v32, v9
	s_delay_alu instid0(VALU_DEP_3)
	v_dual_add_f32 v22, v122, v31 :: v_dual_add_f32 v13, v128, v13
	v_add_f32_e32 v11, v11, v29
	v_dual_add_f32 v1, v2, v1 :: v_dual_add_f32 v26, v111, v48
	v_dual_add_f32 v7, v98, v7 :: v_dual_add_f32 v10, v105, v10
	v_add_f32_e32 v2, v5, v23
	v_dual_add_f32 v23, v73, v58 :: v_dual_add_f32 v24, v24, v109
	;; [unrolled: 3-line block ×3, first 2 shown]
	v_dual_add_f32 v31, v80, v63 :: v_dual_add_f32 v20, v66, v21
	v_add_f32_e32 v21, v39, v57
	v_add_f32_e32 v28, v119, v95
	;; [unrolled: 1-line block ×4, first 2 shown]
	v_dual_add_f32 v14, v126, v22 :: v_dual_add_f32 v15, v1, v3
	v_dual_add_f32 v22, v112, v26 :: v_dual_add_f32 v23, v74, v23
	;; [unrolled: 1-line block ×3, first 2 shown]
	v_add_f32_e32 v25, v2, v25
	v_add_f32_e32 v21, v88, v21
	;; [unrolled: 1-line block ×3, first 2 shown]
	v_dual_add_f32 v28, v60, v5 :: v_dual_add_f32 v31, v81, v31
	v_add_f32_e32 v20, v67, v20
	v_dual_add_f32 v1, v99, v7 :: v_dual_add_f32 v32, v90, v34
	v_dual_add_f32 v5, v113, v22 :: v_dual_add_f32 v34, v16, v0
	v_add_f32_e32 v16, v15, v12
	v_add_f32_e32 v22, v25, v27
	v_add_f32_e32 v24, v127, v24
	v_dual_add_f32 v15, v75, v23 :: v_dual_add_f32 v4, v30, v4
	v_add_f32_e32 v7, v121, v26
	v_dual_add_f32 v29, v89, v29 :: v_dual_add_f32 v30, v87, v6
	v_add_f32_e32 v6, v132, v13
	v_add_f32_e32 v13, v68, v20
	;; [unrolled: 1-line block ×3, first 2 shown]
	v_dual_add_f32 v8, v129, v8 :: v_dual_add_f32 v19, v18, v34
	v_add_f32_e32 v22, v22, v33
	v_add_f32_e32 v36, v36, v4
	;; [unrolled: 1-line block ×4, first 2 shown]
	v_dual_add_f32 v17, v82, v31 :: v_dual_add_f32 v4, v131, v24
	v_dual_add_f32 v2, v130, v14 :: v_dual_add_f32 v11, v61, v28
	v_add_f32_e32 v10, v91, v30
	v_add_f32_e32 v12, v92, v21
	;; [unrolled: 1-line block ×3, first 2 shown]
	v_dual_add_f32 v21, v20, v49 :: v_dual_add_f32 v16, v94, v32
	v_add_f32_e32 v8, v133, v8
	v_add_f32_e32 v20, v22, v35
	;; [unrolled: 1-line block ×3, first 2 shown]
	ds_store_2addr_b64 v54, v[6:7], v[4:5] offset0:84 offset1:126
	ds_store_2addr_b64 v54, v[2:3], v[0:1] offset0:168 offset1:210
	;; [unrolled: 1-line block ×4, first 2 shown]
	ds_store_2addr_b64 v54, v[20:21], v[8:9] offset1:42
	ds_store_b64 v54, v[18:19] offset:3360
.LBB0_21:
	s_wait_alu 0xfffe
	s_or_b32 exec_lo, exec_lo, s1
	v_dual_mov_b32 v1, 0 :: v_dual_lshlrev_b32 v0, 1, v40
	global_wb scope:SCOPE_SE
	s_wait_dscnt 0x0
	s_barrier_signal -1
	s_barrier_wait -1
	global_inv scope:SCOPE_SE
	v_lshlrev_b64_e32 v[2:3], 3, v[0:1]
	v_mov_b32_e32 v48, v1
	s_mov_b32 s1, exec_lo
	s_delay_alu instid0(VALU_DEP_1) | instskip(NEXT) | instid1(VALU_DEP_3)
	v_lshlrev_b64_e32 v[4:5], 3, v[47:48]
	v_add_co_u32 v2, s0, s4, v2
	s_wait_alu 0xf1ff
	v_add_co_ci_u32_e64 v3, s0, s5, v3, s0
	global_load_b128 v[6:9], v[2:3], off offset:3680
	v_add_co_u32 v2, s0, s4, v4
	s_wait_alu 0xf1ff
	v_add_co_ci_u32_e64 v3, s0, s5, v5, s0
	v_add_nc_u32_e32 v5, v43, v52
	v_add_nc_u32_e32 v4, v51, v53
	global_load_b128 v[10:13], v[2:3], off offset:3680
	v_add_nc_u32_e32 v0, 0x1500, v50
	ds_load_b64 v[2:3], v4
	ds_load_2addr_b64 v[14:17], v0 offset0:21 offset1:252
	ds_load_b64 v[18:19], v5
	ds_load_b64 v[20:21], v50 offset:9240
	ds_load_b64 v[22:23], v50
	global_wb scope:SCOPE_SE
	s_wait_loadcnt_dscnt 0x0
	s_barrier_signal -1
	s_barrier_wait -1
	global_inv scope:SCOPE_SE
	v_mul_f32_e32 v0, v7, v3
	v_dual_mul_f32 v7, v7, v2 :: v_dual_mul_f32 v24, v9, v17
	s_delay_alu instid0(VALU_DEP_2) | instskip(NEXT) | instid1(VALU_DEP_2)
	v_dual_mul_f32 v9, v9, v16 :: v_dual_fmac_f32 v0, v6, v2
	v_fma_f32 v2, v6, v3, -v7
	s_delay_alu instid0(VALU_DEP_3) | instskip(SKIP_3) | instid1(VALU_DEP_4)
	v_dual_fmac_f32 v24, v8, v16 :: v_dual_mul_f32 v3, v11, v14
	v_dual_mul_f32 v6, v11, v15 :: v_dual_mul_f32 v11, v13, v21
	v_mul_f32_e32 v7, v13, v20
	v_fma_f32 v8, v8, v17, -v9
	v_fma_f32 v9, v10, v15, -v3
	s_delay_alu instid0(VALU_DEP_4)
	v_fmac_f32_e32 v11, v12, v20
	v_add_f32_e32 v3, v0, v22
	v_fmac_f32_e32 v6, v10, v14
	v_fma_f32 v10, v12, v21, -v7
	v_add_f32_e32 v7, v0, v24
	v_dual_add_f32 v13, v2, v23 :: v_dual_sub_f32 v0, v0, v24
	v_dual_add_f32 v14, v2, v8 :: v_dual_add_f32 v15, v19, v9
	v_sub_f32_e32 v12, v2, v8
	v_add_f32_e32 v2, v3, v24
	v_fma_f32 v22, -0.5, v7, v22
	v_dual_add_f32 v3, v13, v8 :: v_dual_add_f32 v8, v18, v6
	v_fmac_f32_e32 v23, -0.5, v14
	v_dual_add_f32 v13, v6, v11 :: v_dual_sub_f32 v14, v9, v10
	v_dual_add_f32 v9, v9, v10 :: v_dual_sub_f32 v16, v6, v11
	v_fmamk_f32 v6, v12, 0xbf5db3d7, v22
	v_fmac_f32_e32 v22, 0x3f5db3d7, v12
	s_delay_alu instid0(VALU_DEP_4) | instskip(NEXT) | instid1(VALU_DEP_4)
	v_fma_f32 v18, -0.5, v13, v18
	v_fmac_f32_e32 v19, -0.5, v9
	v_fmamk_f32 v7, v0, 0x3f5db3d7, v23
	v_dual_fmac_f32 v23, 0xbf5db3d7, v0 :: v_dual_add_f32 v8, v8, v11
	s_delay_alu instid0(VALU_DEP_4) | instskip(NEXT) | instid1(VALU_DEP_4)
	v_dual_add_f32 v9, v15, v10 :: v_dual_fmamk_f32 v10, v14, 0xbf5db3d7, v18
	v_dual_fmac_f32 v18, 0x3f5db3d7, v14 :: v_dual_fmamk_f32 v11, v16, 0x3f5db3d7, v19
	v_fmac_f32_e32 v19, 0xbf5db3d7, v16
	ds_store_b64 v50, v[2:3]
	ds_store_b64 v50, v[6:7] offset:3696
	ds_store_b64 v50, v[22:23] offset:7392
	ds_store_b64 v5, v[8:9]
	ds_store_b64 v5, v[10:11] offset:3696
	ds_store_b64 v5, v[18:19] offset:7392
	global_wb scope:SCOPE_SE
	s_wait_dscnt 0x0
	s_barrier_signal -1
	s_barrier_wait -1
	global_inv scope:SCOPE_SE
	ds_load_b64 v[2:3], v50
	v_sub_nc_u32_e32 v6, 0, v41
                                        ; implicit-def: $vgpr0
                                        ; implicit-def: $vgpr7
                                        ; implicit-def: $vgpr8
	v_cmpx_ne_u32_e32 0, v40
	s_wait_alu 0xfffe
	s_xor_b32 s1, exec_lo, s1
	s_cbranch_execz .LBB0_23
; %bb.22:
	v_mov_b32_e32 v41, v1
	s_delay_alu instid0(VALU_DEP_1) | instskip(NEXT) | instid1(VALU_DEP_1)
	v_lshlrev_b64_e32 v[0:1], 3, v[40:41]
	v_add_co_u32 v0, s0, s4, v0
	s_wait_alu 0xf1ff
	s_delay_alu instid0(VALU_DEP_2)
	v_add_co_ci_u32_e64 v1, s0, s5, v1, s0
	global_load_b64 v[9:10], v[0:1], off offset:11072
	ds_load_b64 v[0:1], v6 offset:11088
	s_wait_dscnt 0x0
	v_dual_sub_f32 v7, v2, v0 :: v_dual_add_f32 v8, v1, v3
	v_dual_sub_f32 v1, v3, v1 :: v_dual_add_f32 v0, v0, v2
	s_delay_alu instid0(VALU_DEP_2) | instskip(SKIP_1) | instid1(VALU_DEP_1)
	v_dual_mul_f32 v3, 0.5, v7 :: v_dual_mul_f32 v2, 0.5, v8
	s_wait_loadcnt 0x0
	v_dual_mul_f32 v1, 0.5, v1 :: v_dual_mul_f32 v8, v10, v3
	s_delay_alu instid0(VALU_DEP_1) | instskip(SKIP_1) | instid1(VALU_DEP_3)
	v_fma_f32 v11, v2, v10, v1
	v_fma_f32 v1, v2, v10, -v1
	v_fma_f32 v7, 0.5, v0, v8
	v_fma_f32 v0, v0, 0.5, -v8
	s_delay_alu instid0(VALU_DEP_4) | instskip(NEXT) | instid1(VALU_DEP_4)
	v_fma_f32 v8, -v9, v3, v11
	v_fma_f32 v1, -v9, v3, v1
	s_delay_alu instid0(VALU_DEP_4) | instskip(NEXT) | instid1(VALU_DEP_4)
	v_fmac_f32_e32 v7, v9, v2
	v_fma_f32 v0, -v9, v2, v0
                                        ; implicit-def: $vgpr2_vgpr3
.LBB0_23:
	s_wait_alu 0xfffe
	s_and_not1_saveexec_b32 s0, s1
	s_cbranch_execz .LBB0_25
; %bb.24:
	s_wait_dscnt 0x0
	v_dual_mov_b32 v8, 0 :: v_dual_add_f32 v7, v2, v3
	v_sub_f32_e32 v0, v2, v3
	ds_load_b32 v1, v8 offset:5548
	s_wait_dscnt 0x0
	v_xor_b32_e32 v2, 0x80000000, v1
	v_mov_b32_e32 v1, 0
	ds_store_b32 v8, v2 offset:5548
.LBB0_25:
	s_wait_alu 0xfffe
	s_or_b32 exec_lo, exec_lo, s0
	v_mov_b32_e32 v43, 0
	s_wait_dscnt 0x0
	s_delay_alu instid0(VALU_DEP_1) | instskip(SKIP_1) | instid1(VALU_DEP_1)
	v_lshlrev_b64_e32 v[2:3], 3, v[42:43]
	v_mov_b32_e32 v47, v43
	v_lshlrev_b64_e32 v[9:10], 3, v[46:47]
	s_delay_alu instid0(VALU_DEP_3) | instskip(SKIP_1) | instid1(VALU_DEP_4)
	v_add_co_u32 v2, s0, s4, v2
	s_wait_alu 0xf1ff
	v_add_co_ci_u32_e64 v3, s0, s5, v3, s0
	s_delay_alu instid0(VALU_DEP_3)
	v_add_co_u32 v9, s0, s4, v9
	global_load_b64 v[2:3], v[2:3], off offset:11072
	s_wait_alu 0xf1ff
	v_add_co_ci_u32_e64 v10, s0, s5, v10, s0
	global_load_b64 v[9:10], v[9:10], off offset:11072
	ds_store_2addr_b32 v50, v7, v8 offset1:1
	ds_store_b64 v6, v[0:1] offset:11088
	ds_load_b64 v[0:1], v5
	ds_load_b64 v[7:8], v6 offset:9240
	s_wait_dscnt 0x0
	v_dual_sub_f32 v11, v0, v7 :: v_dual_add_f32 v12, v1, v8
	v_dual_sub_f32 v1, v1, v8 :: v_dual_add_f32 v0, v0, v7
	s_delay_alu instid0(VALU_DEP_2) | instskip(NEXT) | instid1(VALU_DEP_2)
	v_dual_mul_f32 v8, 0.5, v11 :: v_dual_mul_f32 v11, 0.5, v12
	v_mul_f32_e32 v1, 0.5, v1
	s_wait_loadcnt 0x1
	s_delay_alu instid0(VALU_DEP_2) | instskip(NEXT) | instid1(VALU_DEP_2)
	v_mul_f32_e32 v7, v3, v8
	v_fma_f32 v12, v11, v3, v1
	v_fma_f32 v1, v11, v3, -v1
	s_delay_alu instid0(VALU_DEP_3) | instskip(SKIP_1) | instid1(VALU_DEP_4)
	v_fma_f32 v3, 0.5, v0, v7
	v_fma_f32 v0, v0, 0.5, -v7
	v_fma_f32 v7, -v2, v8, v12
	s_delay_alu instid0(VALU_DEP_4) | instskip(NEXT) | instid1(VALU_DEP_4)
	v_fma_f32 v1, -v2, v8, v1
	v_fmac_f32_e32 v3, v2, v11
	s_delay_alu instid0(VALU_DEP_4)
	v_fma_f32 v0, -v2, v11, v0
	ds_store_b32 v5, v7 offset:4
	ds_store_b32 v6, v1 offset:9244
	ds_store_b32 v5, v3
	ds_store_b32 v6, v0 offset:9240
	ds_load_b64 v[0:1], v4
	ds_load_b64 v[2:3], v6 offset:7392
	s_wait_dscnt 0x0
	v_sub_f32_e32 v5, v0, v2
	v_add_f32_e32 v7, v1, v3
	v_dual_sub_f32 v1, v1, v3 :: v_dual_add_f32 v0, v0, v2
	s_delay_alu instid0(VALU_DEP_3) | instskip(NEXT) | instid1(VALU_DEP_3)
	v_mul_f32_e32 v3, 0.5, v5
	v_mul_f32_e32 v5, 0.5, v7
	s_wait_loadcnt 0x0
	s_delay_alu instid0(VALU_DEP_2) | instskip(NEXT) | instid1(VALU_DEP_1)
	v_dual_mul_f32 v1, 0.5, v1 :: v_dual_mul_f32 v2, v10, v3
	v_fma_f32 v7, v5, v10, v1
	v_fma_f32 v1, v5, v10, -v1
	s_delay_alu instid0(VALU_DEP_3) | instskip(SKIP_1) | instid1(VALU_DEP_4)
	v_fma_f32 v8, 0.5, v0, v2
	v_fma_f32 v0, v0, 0.5, -v2
	v_fma_f32 v2, -v9, v3, v7
	s_delay_alu instid0(VALU_DEP_4) | instskip(NEXT) | instid1(VALU_DEP_4)
	v_fma_f32 v1, -v9, v3, v1
	v_fmac_f32_e32 v8, v9, v5
	s_delay_alu instid0(VALU_DEP_4)
	v_fma_f32 v0, -v9, v5, v0
	ds_store_b32 v4, v2 offset:4
	ds_store_b32 v6, v1 offset:7396
	ds_store_b32 v4, v8
	ds_store_b32 v6, v0 offset:7392
	global_wb scope:SCOPE_SE
	s_wait_dscnt 0x0
	s_barrier_signal -1
	s_barrier_wait -1
	global_inv scope:SCOPE_SE
	s_and_saveexec_b32 s0, vcc_lo
	s_cbranch_execz .LBB0_28
; %bb.26:
	v_dual_mov_b32 v41, v43 :: v_dual_add_nc_u32 v0, 0xe00, v50
	v_add_nc_u32_e32 v1, 0x1c80, v50
	ds_load_2addr_b64 v[2:5], v50 offset1:231
	ds_load_2addr_b64 v[6:9], v0 offset0:14 offset1:245
	ds_load_2addr_b64 v[10:13], v1 offset0:12 offset1:243
	v_lshlrev_b64_e32 v[14:15], 3, v[40:41]
	v_add_co_u32 v0, vcc_lo, s8, v44
	s_wait_alu 0xfffd
	v_add_co_ci_u32_e32 v1, vcc_lo, s9, v45, vcc_lo
	s_delay_alu instid0(VALU_DEP_2) | instskip(SKIP_1) | instid1(VALU_DEP_2)
	v_add_co_u32 v14, vcc_lo, v0, v14
	s_wait_alu 0xfffd
	v_add_co_ci_u32_e32 v15, vcc_lo, v1, v15, vcc_lo
	v_cmp_eq_u32_e32 vcc_lo, 0xe6, v40
	s_wait_dscnt 0x2
	s_clause 0x1
	global_store_b64 v[14:15], v[2:3], off
	global_store_b64 v[14:15], v[4:5], off offset:1848
	s_wait_dscnt 0x1
	s_clause 0x1
	global_store_b64 v[14:15], v[6:7], off offset:3696
	global_store_b64 v[14:15], v[8:9], off offset:5544
	s_wait_dscnt 0x0
	s_clause 0x1
	global_store_b64 v[14:15], v[10:11], off offset:7392
	global_store_b64 v[14:15], v[12:13], off offset:9240
	s_and_b32 exec_lo, exec_lo, vcc_lo
	s_cbranch_execz .LBB0_28
; %bb.27:
	v_mov_b32_e32 v2, 0
	ds_load_b64 v[2:3], v2 offset:11088
	s_wait_dscnt 0x0
	global_store_b64 v[0:1], v[2:3], off offset:11088
.LBB0_28:
	s_nop 0
	s_sendmsg sendmsg(MSG_DEALLOC_VGPRS)
	s_endpgm
	.section	.rodata,"a",@progbits
	.p2align	6, 0x0
	.amdhsa_kernel fft_rtc_back_len1386_factors_2_7_3_11_3_wgs_231_tpt_231_halfLds_sp_ip_CI_unitstride_sbrr_R2C_dirReg
		.amdhsa_group_segment_fixed_size 0
		.amdhsa_private_segment_fixed_size 0
		.amdhsa_kernarg_size 88
		.amdhsa_user_sgpr_count 2
		.amdhsa_user_sgpr_dispatch_ptr 0
		.amdhsa_user_sgpr_queue_ptr 0
		.amdhsa_user_sgpr_kernarg_segment_ptr 1
		.amdhsa_user_sgpr_dispatch_id 0
		.amdhsa_user_sgpr_private_segment_size 0
		.amdhsa_wavefront_size32 1
		.amdhsa_uses_dynamic_stack 0
		.amdhsa_enable_private_segment 0
		.amdhsa_system_sgpr_workgroup_id_x 1
		.amdhsa_system_sgpr_workgroup_id_y 0
		.amdhsa_system_sgpr_workgroup_id_z 0
		.amdhsa_system_sgpr_workgroup_info 0
		.amdhsa_system_vgpr_workitem_id 0
		.amdhsa_next_free_vgpr 134
		.amdhsa_next_free_sgpr 32
		.amdhsa_reserve_vcc 1
		.amdhsa_float_round_mode_32 0
		.amdhsa_float_round_mode_16_64 0
		.amdhsa_float_denorm_mode_32 3
		.amdhsa_float_denorm_mode_16_64 3
		.amdhsa_fp16_overflow 0
		.amdhsa_workgroup_processor_mode 1
		.amdhsa_memory_ordered 1
		.amdhsa_forward_progress 0
		.amdhsa_round_robin_scheduling 0
		.amdhsa_exception_fp_ieee_invalid_op 0
		.amdhsa_exception_fp_denorm_src 0
		.amdhsa_exception_fp_ieee_div_zero 0
		.amdhsa_exception_fp_ieee_overflow 0
		.amdhsa_exception_fp_ieee_underflow 0
		.amdhsa_exception_fp_ieee_inexact 0
		.amdhsa_exception_int_div_zero 0
	.end_amdhsa_kernel
	.text
.Lfunc_end0:
	.size	fft_rtc_back_len1386_factors_2_7_3_11_3_wgs_231_tpt_231_halfLds_sp_ip_CI_unitstride_sbrr_R2C_dirReg, .Lfunc_end0-fft_rtc_back_len1386_factors_2_7_3_11_3_wgs_231_tpt_231_halfLds_sp_ip_CI_unitstride_sbrr_R2C_dirReg
                                        ; -- End function
	.section	.AMDGPU.csdata,"",@progbits
; Kernel info:
; codeLenInByte = 7316
; NumSgprs: 34
; NumVgprs: 134
; ScratchSize: 0
; MemoryBound: 0
; FloatMode: 240
; IeeeMode: 1
; LDSByteSize: 0 bytes/workgroup (compile time only)
; SGPRBlocks: 4
; VGPRBlocks: 16
; NumSGPRsForWavesPerEU: 34
; NumVGPRsForWavesPerEU: 134
; Occupancy: 10
; WaveLimiterHint : 1
; COMPUTE_PGM_RSRC2:SCRATCH_EN: 0
; COMPUTE_PGM_RSRC2:USER_SGPR: 2
; COMPUTE_PGM_RSRC2:TRAP_HANDLER: 0
; COMPUTE_PGM_RSRC2:TGID_X_EN: 1
; COMPUTE_PGM_RSRC2:TGID_Y_EN: 0
; COMPUTE_PGM_RSRC2:TGID_Z_EN: 0
; COMPUTE_PGM_RSRC2:TIDIG_COMP_CNT: 0
	.text
	.p2alignl 7, 3214868480
	.fill 96, 4, 3214868480
	.type	__hip_cuid_ab2102d3bbe1f4d2,@object ; @__hip_cuid_ab2102d3bbe1f4d2
	.section	.bss,"aw",@nobits
	.globl	__hip_cuid_ab2102d3bbe1f4d2
__hip_cuid_ab2102d3bbe1f4d2:
	.byte	0                               ; 0x0
	.size	__hip_cuid_ab2102d3bbe1f4d2, 1

	.ident	"AMD clang version 19.0.0git (https://github.com/RadeonOpenCompute/llvm-project roc-6.4.0 25133 c7fe45cf4b819c5991fe208aaa96edf142730f1d)"
	.section	".note.GNU-stack","",@progbits
	.addrsig
	.addrsig_sym __hip_cuid_ab2102d3bbe1f4d2
	.amdgpu_metadata
---
amdhsa.kernels:
  - .args:
      - .actual_access:  read_only
        .address_space:  global
        .offset:         0
        .size:           8
        .value_kind:     global_buffer
      - .offset:         8
        .size:           8
        .value_kind:     by_value
      - .actual_access:  read_only
        .address_space:  global
        .offset:         16
        .size:           8
        .value_kind:     global_buffer
      - .actual_access:  read_only
        .address_space:  global
        .offset:         24
        .size:           8
        .value_kind:     global_buffer
      - .offset:         32
        .size:           8
        .value_kind:     by_value
      - .actual_access:  read_only
        .address_space:  global
        .offset:         40
        .size:           8
        .value_kind:     global_buffer
      - .actual_access:  read_only
        .address_space:  global
        .offset:         48
        .size:           8
        .value_kind:     global_buffer
      - .offset:         56
        .size:           4
        .value_kind:     by_value
      - .actual_access:  read_only
        .address_space:  global
        .offset:         64
        .size:           8
        .value_kind:     global_buffer
      - .actual_access:  read_only
        .address_space:  global
        .offset:         72
        .size:           8
        .value_kind:     global_buffer
      - .address_space:  global
        .offset:         80
        .size:           8
        .value_kind:     global_buffer
    .group_segment_fixed_size: 0
    .kernarg_segment_align: 8
    .kernarg_segment_size: 88
    .language:       OpenCL C
    .language_version:
      - 2
      - 0
    .max_flat_workgroup_size: 231
    .name:           fft_rtc_back_len1386_factors_2_7_3_11_3_wgs_231_tpt_231_halfLds_sp_ip_CI_unitstride_sbrr_R2C_dirReg
    .private_segment_fixed_size: 0
    .sgpr_count:     34
    .sgpr_spill_count: 0
    .symbol:         fft_rtc_back_len1386_factors_2_7_3_11_3_wgs_231_tpt_231_halfLds_sp_ip_CI_unitstride_sbrr_R2C_dirReg.kd
    .uniform_work_group_size: 1
    .uses_dynamic_stack: false
    .vgpr_count:     134
    .vgpr_spill_count: 0
    .wavefront_size: 32
    .workgroup_processor_mode: 1
amdhsa.target:   amdgcn-amd-amdhsa--gfx1201
amdhsa.version:
  - 1
  - 2
...

	.end_amdgpu_metadata
